;; amdgpu-corpus repo=ROCm/rocFFT kind=compiled arch=gfx1201 opt=O3
	.text
	.amdgcn_target "amdgcn-amd-amdhsa--gfx1201"
	.amdhsa_code_object_version 6
	.protected	fft_rtc_fwd_len169_factors_13_13_wgs_156_tpt_13_half_op_CI_CI_sbrc_xy_z_aligned_dirReg ; -- Begin function fft_rtc_fwd_len169_factors_13_13_wgs_156_tpt_13_half_op_CI_CI_sbrc_xy_z_aligned_dirReg
	.globl	fft_rtc_fwd_len169_factors_13_13_wgs_156_tpt_13_half_op_CI_CI_sbrc_xy_z_aligned_dirReg
	.p2align	8
	.type	fft_rtc_fwd_len169_factors_13_13_wgs_156_tpt_13_half_op_CI_CI_sbrc_xy_z_aligned_dirReg,@function
fft_rtc_fwd_len169_factors_13_13_wgs_156_tpt_13_half_op_CI_CI_sbrc_xy_z_aligned_dirReg: ; @fft_rtc_fwd_len169_factors_13_13_wgs_156_tpt_13_half_op_CI_CI_sbrc_xy_z_aligned_dirReg
; %bb.0:
	s_clause 0x2
	s_load_b128 s[16:19], s[0:1], 0x10
	s_load_b64 s[24:25], s[0:1], 0x0
	s_load_b64 s[26:27], s[0:1], 0x20
	s_mov_b32 s2, ttmp9
	s_mov_b64 s[30:31], 0
	s_wait_kmcnt 0x0
	s_load_b128 s[20:23], s[16:17], 0x8
	s_clause 0x1
	s_load_b128 s[12:15], s[18:19], 0x0
	s_load_b64 s[28:29], s[18:19], 0x10
	s_wait_kmcnt 0x0
	s_add_co_i32 s3, s22, -1
	s_delay_alu instid0(SALU_CYCLE_1) | instskip(NEXT) | instid1(SALU_CYCLE_1)
	s_mul_hi_u32 s3, s3, 0xaaaaaaab
	s_lshr_b32 s3, s3, 3
	s_delay_alu instid0(SALU_CYCLE_1) | instskip(NEXT) | instid1(SALU_CYCLE_1)
	s_add_co_i32 s3, s3, 1
	s_mul_i32 s8, s3, s20
	s_delay_alu instid0(SALU_CYCLE_1) | instskip(SKIP_1) | instid1(SALU_CYCLE_2)
	s_cvt_f32_u32 s3, s8
	s_sub_co_i32 s4, 0, s8
	v_rcp_iflag_f32_e32 v1, s3
	s_delay_alu instid0(TRANS32_DEP_1) | instskip(SKIP_1) | instid1(VALU_DEP_2)
	v_readfirstlane_b32 s3, v1
	v_cvt_f32_u32_e32 v1, s20
	s_mul_f32 s3, s3, 0x4f7ffffe
	s_wait_alu 0xfffe
	s_delay_alu instid0(SALU_CYCLE_2) | instskip(SKIP_1) | instid1(SALU_CYCLE_2)
	s_cvt_u32_f32 s3, s3
	s_wait_alu 0xfffe
	s_mul_i32 s4, s4, s3
	s_delay_alu instid0(SALU_CYCLE_1) | instskip(NEXT) | instid1(SALU_CYCLE_1)
	s_mul_hi_u32 s4, s3, s4
	s_add_co_i32 s3, s3, s4
	s_wait_alu 0xfffe
	s_mul_hi_u32 s3, ttmp9, s3
	s_wait_alu 0xfffe
	s_mul_i32 s4, s3, s8
	s_add_co_i32 s10, s3, 1
	s_sub_co_i32 s9, ttmp9, s4
	s_clause 0x1
	s_load_b128 s[4:7], s[26:27], 0x0
	s_load_b64 s[22:23], s[26:27], 0x10
	s_sub_co_i32 s11, s9, s8
	s_cmp_ge_u32 s9, s8
	s_cselect_b32 s3, s10, s3
	s_wait_kmcnt 0x0
	s_cselect_b32 s7, s11, s9
	s_wait_alu 0xfffe
	s_add_co_i32 s9, s3, 1
	s_cmp_ge_u32 s7, s8
	s_cselect_b32 s16, s9, s3
	s_mov_b32 s3, 0
	s_mul_i32 s7, s16, s8
	s_wait_alu 0xfffe
	s_mov_b32 s9, s3
	s_sub_co_i32 s8, ttmp9, s7
	s_delay_alu instid0(SALU_CYCLE_1) | instskip(NEXT) | instid1(VALU_DEP_1)
	v_cmp_lt_u64_e64 s7, s[8:9], s[20:21]
	s_and_b32 vcc_lo, exec_lo, s7
	s_cbranch_vccnz .LBB0_2
; %bb.1:
	v_rcp_iflag_f32_e32 v2, v1
	s_sub_co_i32 s9, 0, s20
	s_delay_alu instid0(TRANS32_DEP_1) | instskip(NEXT) | instid1(VALU_DEP_1)
	v_mul_f32_e32 v2, 0x4f7ffffe, v2
	v_cvt_u32_f32_e32 v2, v2
	s_delay_alu instid0(VALU_DEP_1) | instskip(SKIP_1) | instid1(VALU_DEP_1)
	v_readfirstlane_b32 s7, v2
	s_wait_alu 0xfffe
	s_mul_i32 s9, s9, s7
	s_wait_alu 0xfffe
	s_mul_hi_u32 s9, s7, s9
	s_wait_alu 0xfffe
	s_add_co_i32 s7, s7, s9
	s_delay_alu instid0(SALU_CYCLE_1) | instskip(NEXT) | instid1(SALU_CYCLE_1)
	s_mul_hi_u32 s7, s8, s7
	s_mul_i32 s9, s7, s20
	s_wait_alu 0xfffe
	s_sub_co_i32 s8, s8, s9
	s_add_co_i32 s9, s7, 1
	s_wait_alu 0xfffe
	s_sub_co_i32 s10, s8, s20
	s_cmp_ge_u32 s8, s20
	s_cselect_b32 s7, s9, s7
	s_cselect_b32 s8, s10, s8
	s_add_co_i32 s9, s7, 1
	s_wait_alu 0xfffe
	s_cmp_ge_u32 s8, s20
	s_cselect_b32 s30, s9, s7
.LBB0_2:
	s_load_b128 s[8:11], s[0:1], 0x58
	v_cmp_lt_u64_e64 s3, s[2:3], s[20:21]
	s_delay_alu instid0(VALU_DEP_1)
	s_and_b32 vcc_lo, exec_lo, s3
	s_cbranch_vccnz .LBB0_4
; %bb.3:
	v_rcp_iflag_f32_e32 v1, v1
	s_sub_co_i32 s7, 0, s20
	s_delay_alu instid0(TRANS32_DEP_1) | instskip(NEXT) | instid1(VALU_DEP_1)
	v_mul_f32_e32 v1, 0x4f7ffffe, v1
	v_cvt_u32_f32_e32 v1, v1
	s_delay_alu instid0(VALU_DEP_1) | instskip(NEXT) | instid1(VALU_DEP_1)
	v_readfirstlane_b32 s3, v1
	s_mul_i32 s7, s7, s3
	s_delay_alu instid0(SALU_CYCLE_1) | instskip(NEXT) | instid1(SALU_CYCLE_1)
	s_mul_hi_u32 s7, s3, s7
	s_add_co_i32 s3, s3, s7
	s_wait_alu 0xfffe
	s_mul_hi_u32 s3, s2, s3
	s_wait_alu 0xfffe
	s_mul_i32 s3, s3, s20
	s_wait_alu 0xfffe
	s_sub_co_i32 s2, s2, s3
	s_wait_alu 0xfffe
	s_sub_co_i32 s3, s2, s20
	s_cmp_ge_u32 s2, s20
	s_wait_alu 0xfffe
	s_cselect_b32 s2, s3, s2
	s_wait_alu 0xfffe
	s_sub_co_i32 s3, s2, s20
	s_cmp_ge_u32 s2, s20
	s_wait_alu 0xfffe
	s_cselect_b32 s2, s3, s2
.LBB0_4:
	v_mul_u32_u24_e32 v1, 0x184, v0
	s_load_b64 s[20:21], s[0:1], 0x8
	v_add_nc_u16 v6, v0, 0x138
	s_mul_i32 s0, s2, s14
	v_add_nc_u16 v14, v0, 0x1d4
	v_lshrrev_b32_e32 v3, 16, v1
	v_add_nc_u16 v1, v0, 0x9c
	v_and_b32_e32 v7, 0xffff, v6
	s_mov_b32 s1, 0
	s_mul_i32 s7, s30, 12
	v_mul_lo_u16 v4, 0xa9, v3
	v_dual_mov_b32 v2, 0 :: v_dual_and_b32 v5, 0xffff, v1
	s_mov_b32 s17, s1
	s_mul_i32 s3, s7, s28
	s_delay_alu instid0(VALU_DEP_2) | instskip(NEXT) | instid1(VALU_DEP_2)
	v_sub_nc_u16 v25, v0, v4
	v_mul_u32_u24_e32 v4, 0x184, v5
	v_mul_u32_u24_e32 v5, 0x184, v7
	s_wait_alu 0xfffe
	s_add_co_i32 s0, s0, s3
	v_add_nc_u16 v19, v0, 0x3a8
	v_and_b32_e32 v7, 0xffff, v25
	v_lshrrev_b32_e32 v26, 16, v4
	s_wait_kmcnt 0x0
	s_lshl_b64 s[14:15], s[20:21], 3
	v_lshrrev_b32_e32 v27, 16, v5
	s_add_nc_u64 s[18:19], s[18:19], s[14:15]
	v_mad_co_u64_u32 v[4:5], null, s12, v7, 0
	v_mul_lo_u16 v8, 0xa9, v26
	s_load_b64 s[18:19], s[18:19], 0x0
	v_mul_lo_u16 v9, 0xa9, v27
	s_lshl_b64 s[20:21], s[0:1], 2
	v_add_nc_u16 v24, v0, 0x4e0
	v_sub_nc_u16 v28, v1, v8
	v_mul_lo_u32 v1, s28, v3
	v_sub_nc_u16 v29, v6, v9
	v_mad_co_u64_u32 v[5:6], null, s13, v7, v[5:6]
	s_delay_alu instid0(VALU_DEP_4) | instskip(SKIP_1) | instid1(VALU_DEP_4)
	v_and_b32_e32 v12, 0xffff, v28
	v_and_b32_e32 v8, 0xffff, v14
	;; [unrolled: 1-line block ×3, first 2 shown]
	v_add_nc_u16 v41, v0, 0x57c
	s_mul_i32 s0, s2, s22
	v_mad_co_u64_u32 v[6:7], null, s12, v12, 0
	v_lshlrev_b64_e32 v[4:5], 2, v[4:5]
	v_mul_u32_u24_e32 v16, 0x184, v8
	v_lshlrev_b64_e32 v[8:9], 2, v[1:2]
	v_mad_co_u64_u32 v[10:11], null, s12, v15, 0
	s_wait_kmcnt 0x0
	s_mul_u64 s[18:19], s[18:19], s[16:17]
	v_mov_b32_e32 v1, v7
	s_lshl_b64 s[18:19], s[18:19], 2
	v_lshrrev_b32_e32 v30, 16, v16
	s_add_nc_u64 s[8:9], s[8:9], s[18:19]
	v_add_nc_u16 v16, v0, 0x270
	s_wait_alu 0xfffe
	s_add_nc_u64 s[8:9], s[8:9], s[20:21]
	v_mad_co_u64_u32 v[12:13], null, s13, v12, v[1:2]
	s_wait_alu 0xfffe
	v_add_co_u32 v1, vcc_lo, s8, v4
	v_add_co_ci_u32_e32 v5, vcc_lo, s9, v5, vcc_lo
	s_lshl_b64 s[0:1], s[0:1], 2
	s_delay_alu instid0(VALU_DEP_2)
	v_add_co_u32 v4, vcc_lo, v1, v8
	v_mov_b32_e32 v8, v11
	v_mul_lo_u16 v11, 0xa9, v30
	v_mov_b32_e32 v7, v12
	s_wait_alu 0xfffd
	v_add_co_ci_u32_e32 v5, vcc_lo, v5, v9, vcc_lo
	v_mad_co_u64_u32 v[8:9], null, s13, v15, v[8:9]
	v_sub_nc_u16 v31, v14, v11
	v_mul_lo_u32 v1, s28, v26
	v_lshlrev_b64_e32 v[6:7], 2, v[6:7]
	v_and_b32_e32 v9, 0xffff, v16
	s_delay_alu instid0(VALU_DEP_4) | instskip(NEXT) | instid1(VALU_DEP_3)
	v_dual_mov_b32 v11, v8 :: v_dual_and_b32 v14, 0xffff, v31
	v_add_co_u32 v12, vcc_lo, s8, v6
	s_wait_alu 0xfffd
	s_delay_alu instid0(VALU_DEP_4)
	v_add_co_ci_u32_e32 v13, vcc_lo, s9, v7, vcc_lo
	v_lshlrev_b64_e32 v[6:7], 2, v[1:2]
	v_mul_u32_u24_e32 v15, 0x184, v9
	v_mad_co_u64_u32 v[8:9], null, s12, v14, 0
	v_lshlrev_b64_e32 v[10:11], 2, v[10:11]
	v_mul_lo_u32 v1, s28, v27
	s_delay_alu instid0(VALU_DEP_4)
	v_lshrrev_b32_e32 v32, 16, v15
	v_add_nc_u16 v15, v0, 0x30c
	v_add_co_u32 v6, vcc_lo, v12, v6
	s_wait_alu 0xfffd
	v_add_co_ci_u32_e32 v7, vcc_lo, v13, v7, vcc_lo
	v_mad_co_u64_u32 v[12:13], null, s13, v14, v[9:10]
	v_and_b32_e32 v18, 0xffff, v15
	v_mul_lo_u16 v17, 0xa9, v32
	v_lshlrev_b64_e32 v[13:14], 2, v[1:2]
	v_add_co_u32 v10, vcc_lo, s8, v10
	s_wait_alu 0xfffd
	v_add_co_ci_u32_e32 v11, vcc_lo, s9, v11, vcc_lo
	v_mov_b32_e32 v9, v12
	v_mul_u32_u24_e32 v1, 0xc1f, v18
	v_sub_nc_u16 v33, v16, v17
	v_add_co_u32 v10, vcc_lo, v10, v13
	s_wait_alu 0xfffd
	v_add_co_ci_u32_e32 v11, vcc_lo, v11, v14, vcc_lo
	v_lshrrev_b32_e32 v34, 19, v1
	v_and_b32_e32 v16, 0xffff, v33
	v_mul_lo_u32 v1, s28, v30
	v_lshlrev_b64_e32 v[8:9], 2, v[8:9]
	s_delay_alu instid0(VALU_DEP_4) | instskip(NEXT) | instid1(VALU_DEP_4)
	v_mul_lo_u16 v14, 0xa9, v34
	v_mad_co_u64_u32 v[12:13], null, s12, v16, 0
	s_delay_alu instid0(VALU_DEP_3) | instskip(NEXT) | instid1(VALU_DEP_3)
	v_add_co_u32 v17, vcc_lo, s8, v8
	v_sub_nc_u16 v35, v15, v14
	s_wait_alu 0xfffd
	v_add_co_ci_u32_e32 v18, vcc_lo, s9, v9, vcc_lo
	s_delay_alu instid0(VALU_DEP_4) | instskip(SKIP_3) | instid1(VALU_DEP_4)
	v_mov_b32_e32 v8, v13
	v_lshlrev_b64_e32 v[13:14], 2, v[1:2]
	v_and_b32_e32 v20, 0xffff, v35
	v_and_b32_e32 v1, 0xffff, v19
	v_mad_co_u64_u32 v[8:9], null, s13, v16, v[8:9]
	s_delay_alu instid0(VALU_DEP_3)
	v_mad_co_u64_u32 v[15:16], null, s12, v20, 0
	v_add_co_u32 v17, vcc_lo, v17, v13
	s_wait_alu 0xfffd
	v_add_co_ci_u32_e32 v18, vcc_lo, v18, v14, vcc_lo
	v_add_nc_u16 v14, v0, 0x444
	v_mul_u32_u24_e32 v1, 0xc1f, v1
	v_dual_mov_b32 v13, v8 :: v_dual_mov_b32 v8, v16
	s_delay_alu instid0(VALU_DEP_3) | instskip(NEXT) | instid1(VALU_DEP_3)
	v_and_b32_e32 v21, 0xffff, v14
	v_lshrrev_b32_e32 v36, 19, v1
	v_mul_lo_u32 v1, s28, v32
	s_delay_alu instid0(VALU_DEP_4) | instskip(NEXT) | instid1(VALU_DEP_4)
	v_mad_co_u64_u32 v[8:9], null, s13, v20, v[8:9]
	v_mul_u32_u24_e32 v9, 0xc1f, v21
	s_delay_alu instid0(VALU_DEP_4) | instskip(SKIP_1) | instid1(VALU_DEP_3)
	v_mul_lo_u16 v16, 0xa9, v36
	v_lshlrev_b64_e32 v[12:13], 2, v[12:13]
	v_lshrrev_b32_e32 v38, 19, v9
	s_delay_alu instid0(VALU_DEP_3) | instskip(SKIP_1) | instid1(VALU_DEP_4)
	v_sub_nc_u16 v37, v19, v16
	v_mov_b32_e32 v16, v8
	v_add_co_u32 v19, vcc_lo, s8, v12
	s_delay_alu instid0(VALU_DEP_4) | instskip(NEXT) | instid1(VALU_DEP_4)
	v_mul_lo_u16 v22, 0xa9, v38
	v_and_b32_e32 v21, 0xffff, v37
	s_wait_alu 0xfffd
	v_add_co_ci_u32_e32 v20, vcc_lo, s9, v13, vcc_lo
	v_lshlrev_b64_e32 v[12:13], 2, v[1:2]
	v_mul_lo_u32 v1, s28, v34
	v_sub_nc_u16 v39, v14, v22
	v_mad_co_u64_u32 v[8:9], null, s12, v21, 0
	v_lshlrev_b64_e32 v[14:15], 2, v[15:16]
	v_add_co_u32 v12, vcc_lo, v19, v12
	s_delay_alu instid0(VALU_DEP_4)
	v_and_b32_e32 v16, 0xffff, v39
	s_wait_alu 0xfffd
	v_add_co_ci_u32_e32 v13, vcc_lo, v20, v13, vcc_lo
	v_lshlrev_b64_e32 v[19:20], 2, v[1:2]
	v_and_b32_e32 v1, 0xffff, v24
	v_mad_co_u64_u32 v[21:22], null, s13, v21, v[9:10]
	v_mad_co_u64_u32 v[22:23], null, s12, v16, 0
	s_delay_alu instid0(VALU_DEP_3) | instskip(SKIP_3) | instid1(VALU_DEP_3)
	v_mul_u32_u24_e32 v1, 0xc1f, v1
	v_add_co_u32 v14, vcc_lo, s8, v14
	s_wait_alu 0xfffd
	v_add_co_ci_u32_e32 v15, vcc_lo, s9, v15, vcc_lo
	v_lshrrev_b32_e32 v40, 19, v1
	v_mov_b32_e32 v1, v23
	v_add_co_u32 v14, vcc_lo, v14, v19
	s_wait_alu 0xfffd
	v_add_co_ci_u32_e32 v15, vcc_lo, v15, v20, vcc_lo
	s_delay_alu instid0(VALU_DEP_3) | instskip(SKIP_3) | instid1(VALU_DEP_4)
	v_mad_co_u64_u32 v[19:20], null, s13, v16, v[1:2]
	v_dual_mov_b32 v9, v21 :: v_dual_and_b32 v16, 0xffff, v41
	v_mul_lo_u16 v21, 0xa9, v40
	v_mul_lo_u32 v1, s28, v36
	v_mov_b32_e32 v23, v19
	s_delay_alu instid0(VALU_DEP_4) | instskip(NEXT) | instid1(VALU_DEP_4)
	v_mul_u32_u24_e32 v16, 0xc1f, v16
	v_sub_nc_u16 v42, v24, v21
	v_lshlrev_b64_e32 v[8:9], 2, v[8:9]
	s_delay_alu instid0(VALU_DEP_4) | instskip(NEXT) | instid1(VALU_DEP_4)
	v_lshlrev_b64_e32 v[19:20], 2, v[22:23]
	v_lshrrev_b32_e32 v45, 19, v16
	s_delay_alu instid0(VALU_DEP_4) | instskip(NEXT) | instid1(VALU_DEP_4)
	v_and_b32_e32 v44, 0xffff, v42
	v_add_co_u32 v24, vcc_lo, s8, v8
	s_delay_alu instid0(VALU_DEP_3)
	v_mul_lo_u16 v16, 0xa9, v45
	s_wait_alu 0xfffd
	v_add_co_ci_u32_e32 v43, vcc_lo, s9, v9, vcc_lo
	v_lshlrev_b64_e32 v[8:9], 2, v[1:2]
	v_mul_lo_u32 v1, s28, v38
	v_mad_co_u64_u32 v[21:22], null, s12, v44, 0
	v_sub_nc_u16 v41, v41, v16
	v_add_nc_u16 v16, v0, 0x618
	v_add_co_u32 v8, vcc_lo, v24, v8
	s_wait_alu 0xfffd
	v_add_co_ci_u32_e32 v9, vcc_lo, v43, v9, vcc_lo
	v_lshlrev_b64_e32 v[23:24], 2, v[1:2]
	v_mov_b32_e32 v1, v22
	v_add_co_u32 v19, vcc_lo, s8, v19
	v_and_b32_e32 v46, 0xffff, v16
	s_wait_alu 0xfffd
	v_add_co_ci_u32_e32 v20, vcc_lo, s9, v20, vcc_lo
	v_and_b32_e32 v43, 0xffff, v41
	v_add_co_u32 v19, vcc_lo, v19, v23
	v_mad_co_u64_u32 v[22:23], null, s13, v44, v[1:2]
	v_mul_u32_u24_e32 v44, 0xc1f, v46
	v_add_nc_u16 v46, v0, 0x6b4
	s_wait_alu 0xfffd
	v_add_co_ci_u32_e32 v20, vcc_lo, v20, v24, vcc_lo
	v_mad_co_u64_u32 v[23:24], null, s12, v43, 0
	s_clause 0x7
	global_load_b32 v47, v[4:5], off
	global_load_b32 v48, v[6:7], off
	;; [unrolled: 1-line block ×8, first 2 shown]
	v_and_b32_e32 v7, 0xffff, v46
	v_add_nc_u16 v8, v0, 0x750
	v_lshrrev_b32_e32 v44, 19, v44
	v_mul_lo_u32 v1, s28, v40
	v_lshlrev_b64_e32 v[4:5], 2, v[21:22]
	v_mov_b32_e32 v6, v24
	v_mul_u32_u24_e32 v10, 0xc1f, v7
	v_and_b32_e32 v11, 0xffff, v8
	v_mul_lo_u16 v9, 0xa9, v44
	s_delay_alu instid0(VALU_DEP_4) | instskip(NEXT) | instid1(VALU_DEP_4)
	v_mad_co_u64_u32 v[6:7], null, s13, v43, v[6:7]
	v_lshrrev_b32_e32 v22, 19, v10
	s_delay_alu instid0(VALU_DEP_4) | instskip(NEXT) | instid1(VALU_DEP_4)
	v_mul_u32_u24_e32 v7, 0xc1f, v11
	v_sub_nc_u16 v21, v16, v9
	v_add_co_u32 v9, vcc_lo, s8, v4
	s_wait_alu 0xfffd
	v_add_co_ci_u32_e32 v10, vcc_lo, s9, v5, vcc_lo
	v_lshlrev_b64_e32 v[4:5], 2, v[1:2]
	v_mul_lo_u16 v1, 0xa9, v22
	v_lshrrev_b32_e32 v43, 19, v7
	v_and_b32_e32 v12, 0xffff, v21
	v_mov_b32_e32 v24, v6
	v_mad_u16 v21, v21, 12, v44
	v_sub_nc_u16 v46, v46, v1
	v_mul_lo_u16 v1, 0xa9, v43
	v_mad_co_u64_u32 v[6:7], null, s12, v12, 0
	v_add_co_u32 v4, vcc_lo, v9, v4
	s_delay_alu instid0(VALU_DEP_4) | instskip(NEXT) | instid1(VALU_DEP_4)
	v_and_b32_e32 v17, 0xffff, v46
	v_sub_nc_u16 v55, v8, v1
	v_lshlrev_b64_e32 v[8:9], 2, v[23:24]
	s_wait_alu 0xfffd
	v_add_co_ci_u32_e32 v5, vcc_lo, v10, v5, vcc_lo
	v_mad_co_u64_u32 v[10:11], null, s12, v17, 0
	v_and_b32_e32 v19, 0xffff, v55
	v_mul_lo_u32 v1, s28, v45
	v_mad_co_u64_u32 v[12:13], null, s13, v12, v[7:8]
	v_add_co_u32 v18, vcc_lo, s8, v8
	s_delay_alu instid0(VALU_DEP_4)
	v_mad_co_u64_u32 v[13:14], null, s12, v19, 0
	v_mov_b32_e32 v8, v11
	v_lshlrev_b64_e32 v[15:16], 2, v[1:2]
	s_wait_alu 0xfffd
	v_add_co_ci_u32_e32 v20, vcc_lo, s9, v9, vcc_lo
	v_mul_lo_u32 v1, s28, v44
	v_mad_co_u64_u32 v[8:9], null, s13, v17, v[8:9]
	v_mov_b32_e32 v9, v14
	v_mov_b32_e32 v7, v12
	v_add_co_u32 v15, vcc_lo, v18, v15
	s_wait_alu 0xfffd
	v_add_co_ci_u32_e32 v16, vcc_lo, v20, v16, vcc_lo
	v_mad_co_u64_u32 v[19:20], null, s13, v19, v[9:10]
	v_lshlrev_b64_e32 v[6:7], 2, v[6:7]
	v_lshlrev_b64_e32 v[17:18], 2, v[1:2]
	v_mul_lo_u32 v1, s28, v22
	v_mov_b32_e32 v11, v8
	v_mad_u16 v22, v46, 12, v22
	v_mad_u16 v23, v55, 12, v43
	v_add_co_u32 v8, vcc_lo, s8, v6
	v_mov_b32_e32 v14, v19
	s_wait_alu 0xfffd
	v_add_co_ci_u32_e32 v9, vcc_lo, s9, v7, vcc_lo
	v_lshlrev_b64_e32 v[6:7], 2, v[10:11]
	v_lshlrev_b64_e32 v[10:11], 2, v[1:2]
	v_mul_lo_u32 v1, s28, v43
	v_add_co_u32 v8, vcc_lo, v8, v17
	v_lshlrev_b64_e32 v[12:13], 2, v[13:14]
	s_wait_alu 0xfffd
	v_add_co_ci_u32_e32 v9, vcc_lo, v9, v18, vcc_lo
	v_add_co_u32 v14, vcc_lo, s8, v6
	s_wait_alu 0xfffd
	v_add_co_ci_u32_e32 v17, vcc_lo, s9, v7, vcc_lo
	v_add_co_u32 v12, vcc_lo, s8, v12
	v_lshlrev_b64_e32 v[6:7], 2, v[1:2]
	s_wait_alu 0xfffd
	v_add_co_ci_u32_e32 v13, vcc_lo, s9, v13, vcc_lo
	v_add_co_u32 v10, vcc_lo, v14, v10
	s_wait_alu 0xfffd
	v_add_co_ci_u32_e32 v11, vcc_lo, v17, v11, vcc_lo
	v_add_co_u32 v6, vcc_lo, v12, v6
	s_wait_alu 0xfffd
	v_add_co_ci_u32_e32 v7, vcc_lo, v13, v7, vcc_lo
	s_clause 0x4
	global_load_b32 v4, v[4:5], off
	global_load_b32 v5, v[15:16], off
	global_load_b32 v8, v[8:9], off
	global_load_b32 v14, v[10:11], off
	global_load_b32 v6, v[6:7], off
	v_mul_u32_u24_e32 v1, 0x1556, v0
	v_mul_lo_u16 v7, v25, 12
	v_mul_lo_u16 v10, v28, 12
	v_mad_u16 v11, v29, 12, v27
	v_mad_u16 v12, v31, 12, v30
	v_lshrrev_b32_e32 v13, 16, v1
	v_or_b32_e32 v3, v7, v3
	v_mad_u16 v15, v33, 12, v32
	v_mad_u16 v16, v35, 12, v34
	;; [unrolled: 1-line block ×3, first 2 shown]
	v_mul_lo_u16 v1, v13, 12
	v_mul_u32_u24_e32 v7, 48, v13
	v_and_b32_e32 v3, 0xffff, v3
	v_and_b32_e32 v16, 0xffff, v16
	v_mad_u16 v18, v39, 12, v38
	v_sub_nc_u16 v1, v0, v1
	v_mad_u16 v19, v42, 12, v40
	v_mad_u16 v20, v41, 12, v45
	v_and_b32_e32 v24, 0xffff, v11
	v_and_b32_e32 v25, 0xffff, v12
	;; [unrolled: 1-line block ×7, first 2 shown]
	v_lshlrev_b32_e32 v9, 2, v1
	v_lshl_add_u32 v3, v3, 2, 0
	v_and_b32_e32 v17, 0xffff, v17
	v_and_b32_e32 v18, 0xffff, v18
	;; [unrolled: 1-line block ×3, first 2 shown]
	v_add3_u32 v9, 0, v7, v9
	v_or_b32_e32 v7, v10, v26
	v_and_b32_e32 v20, 0xffff, v20
	v_lshl_add_u32 v24, v24, 2, 0
	s_add_nc_u64 s[8:9], s[26:27], s[14:15]
	v_add_nc_u32_e32 v10, 0x400, v9
	v_and_b32_e32 v7, 0xffff, v7
	v_lshl_add_u32 v25, v25, 2, 0
	v_lshl_add_u32 v15, v15, 2, 0
	;; [unrolled: 1-line block ×6, first 2 shown]
	s_load_b64 s[8:9], s[8:9], 0x0
	v_add_nc_u32_e32 v11, 0x900, v9
	v_add_nc_u32_e32 v12, 0xe00, v9
	v_lshl_add_u32 v16, v16, 2, 0
	v_lshl_add_u32 v17, v17, 2, 0
	;; [unrolled: 1-line block ×5, first 2 shown]
	v_mul_u32_u24_e32 v0, 0x1a5, v0
	v_add_co_u32 v1, s7, s7, v1
	s_wait_loadcnt 0xc
	ds_store_b32 v3, v47
	s_wait_loadcnt 0xb
	ds_store_b32 v7, v48
	;; [unrolled: 2-line block ×13, first 2 shown]
	global_wb scope:SCOPE_SE
	s_wait_dscnt 0x0
	s_wait_kmcnt 0x0
	s_barrier_signal -1
	s_barrier_wait -1
	global_inv scope:SCOPE_SE
	ds_load_2addr_b32 v[21:22], v9 offset1:156
	ds_load_2addr_b32 v[23:24], v10 offset0:56 offset1:212
	v_add_nc_u32_e32 v14, 0x1200, v9
	v_add_nc_u32_e32 v15, 0x1800, v9
	ds_load_2addr_b32 v[5:6], v11 offset0:48 offset1:204
	ds_load_2addr_b32 v[3:4], v12 offset0:40 offset1:196
	;; [unrolled: 1-line block ×4, first 2 shown]
	ds_load_b32 v18, v9 offset:7488
	global_wb scope:SCOPE_SE
	s_wait_dscnt 0x0
	s_barrier_signal -1
	s_barrier_wait -1
	global_inv scope:SCOPE_SE
	v_lshrrev_b32_e32 v0, 16, v0
	s_mul_u64 s[2:3], s[8:9], s[16:17]
	s_wait_alu 0xfffe
	s_lshl_b64 s[2:3], s[2:3], 2
	s_delay_alu instid0(VALU_DEP_1)
	v_mul_lo_u16 v0, 0xa9, v0
	s_wait_alu 0xfffe
	s_add_nc_u64 s[2:3], s[10:11], s[2:3]
	s_wait_alu 0xfffe
	s_add_nc_u64 s[0:1], s[2:3], s[0:1]
	v_lshrrev_b32_e32 v27, 16, v22
	v_lshrrev_b32_e32 v35, 16, v21
	;; [unrolled: 1-line block ×3, first 2 shown]
	v_add_f16_e32 v36, v22, v21
	v_lshrrev_b32_e32 v29, 16, v24
	v_lshrrev_b32_e32 v33, 16, v26
	v_add_f16_e32 v40, v27, v35
	v_add_f16_e32 v38, v26, v23
	v_sub_f16_e32 v39, v23, v26
	v_add_f16_e32 v23, v36, v23
	v_add_f16_e32 v46, v33, v28
	v_sub_f16_e32 v47, v28, v33
	v_add_f16_e32 v28, v40, v28
	v_lshrrev_b32_e32 v30, 16, v5
	v_add_f16_e32 v23, v23, v24
	v_lshrrev_b32_e32 v19, 16, v6
	v_lshrrev_b32_e32 v16, 16, v3
	v_add_f16_e32 v28, v28, v29
	v_lshrrev_b32_e32 v17, 16, v4
	v_add_f16_e32 v23, v23, v5
	v_lshrrev_b32_e32 v20, 16, v7
	v_lshrrev_b32_e32 v31, 16, v8
	v_add_f16_e32 v28, v28, v30
	v_lshrrev_b32_e32 v32, 16, v25
	v_add_f16_e32 v23, v23, v6
	;; [unrolled: 2-line block ×3, first 2 shown]
	v_add_f16_e32 v28, v28, v19
	v_sub_f16_e32 v22, v22, v18
	v_add_f16_e32 v23, v23, v3
	v_add_f16_e32 v36, v34, v27
	v_sub_f16_e32 v27, v27, v34
	v_add_f16_e32 v28, v28, v16
	v_mul_f16_e32 v41, 0xb770, v22
	v_add_f16_e32 v23, v23, v4
	v_mul_f16_e32 v42, 0xba95, v22
	v_mul_f16_e32 v43, 0xbbf1, v22
	v_add_f16_e32 v28, v28, v17
	v_mul_f16_e32 v44, 0xbb7b, v22
	v_add_f16_e32 v23, v23, v7
	v_mul_f16_e32 v45, 0xb94e, v22
	v_mul_f16_e32 v22, 0xb3a8, v22
	v_add_f16_e32 v28, v28, v20
	v_mul_f16_e32 v40, 0xb770, v27
	v_add_f16_e32 v23, v23, v8
	v_mul_f16_e32 v48, 0xba95, v39
	v_fmamk_f16 v50, v36, 0x3b15, v41
	v_add_f16_e32 v28, v28, v31
	v_fma_f16 v41, v36, 0x3b15, -v41
	v_add_f16_e32 v23, v23, v25
	v_fmamk_f16 v52, v36, 0x388b, v42
	v_fma_f16 v42, v36, 0x388b, -v42
	v_add_f16_e32 v28, v28, v32
	v_fmamk_f16 v54, v36, 0x2fb7, v43
	v_add_f16_e32 v23, v23, v26
	v_fma_f16 v43, v36, 0x2fb7, -v43
	v_fmamk_f16 v56, v36, 0xb5ac, v44
	v_add_f16_e32 v26, v28, v33
	v_fma_f16 v44, v36, 0xb5ac, -v44
	v_fmamk_f16 v58, v36, 0xb9fd, v45
	v_fma_f16 v45, v36, 0xb9fd, -v45
	v_fmamk_f16 v59, v36, 0xbbc4, v22
	v_fma_f16 v22, v36, 0xbbc4, -v22
	v_mul_f16_e32 v36, 0xba95, v47
	v_fma_f16 v62, v37, 0x3b15, -v40
	v_fmac_f16_e32 v40, 0x3b15, v37
	v_add_f16_e32 v18, v23, v18
	v_add_f16_e32 v23, v26, v34
	v_mul_f16_e32 v49, 0xbb7b, v39
	v_mul_f16_e32 v51, 0xba95, v27
	;; [unrolled: 1-line block ×6, first 2 shown]
	v_fmamk_f16 v60, v46, 0x388b, v48
	v_fma_f16 v48, v46, 0x388b, -v48
	v_add_f16_e32 v50, v50, v35
	v_add_f16_e32 v41, v41, v35
	;; [unrolled: 1-line block ×12, first 2 shown]
	v_fma_f16 v35, v38, 0x388b, -v36
	v_fmac_f16_e32 v36, 0x388b, v38
	v_add_f16_e32 v40, v40, v21
	v_and_b32_e32 v18, 0xffff, v18
	v_lshlrev_b32_e32 v23, 16, v23
	v_fma_f16 v63, v37, 0x388b, -v51
	v_fmac_f16_e32 v51, 0x388b, v37
	v_fma_f16 v64, v37, 0x2fb7, -v53
	v_fmac_f16_e32 v53, 0x2fb7, v37
	;; [unrolled: 2-line block ×5, first 2 shown]
	v_or_b32_e32 v18, v23, v18
	v_add_f16_e32 v23, v36, v40
	v_add_f16_e32 v36, v48, v41
	v_mul_f16_e32 v41, 0xb3a8, v47
	v_fma_f16 v48, v46, 0xb5ac, -v49
	v_add_f16_e32 v62, v62, v21
	v_add_f16_e32 v63, v63, v21
	;; [unrolled: 1-line block ×12, first 2 shown]
	v_fmamk_f16 v40, v46, 0xb5ac, v49
	v_fma_f16 v49, v38, 0xbbc4, -v41
	v_mul_f16_e32 v50, 0xb3a8, v39
	v_add_f16_e32 v42, v48, v42
	v_mul_f16_e32 v48, 0x394e, v47
	v_add_f16_e32 v40, v40, v52
	v_add_f16_e32 v28, v49, v28
	v_fmamk_f16 v49, v46, 0xbbc4, v50
	v_fmac_f16_e32 v41, 0xbbc4, v38
	v_fma_f16 v50, v46, 0xbbc4, -v50
	v_fma_f16 v52, v38, 0xb9fd, -v48
	v_mul_f16_e32 v60, 0x394e, v39
	v_mul_f16_e32 v61, 0xbb7b, v47
	v_add_f16_e32 v33, v41, v33
	v_add_f16_e32 v41, v50, v43
	;; [unrolled: 1-line block ×3, first 2 shown]
	v_fmamk_f16 v50, v46, 0xb9fd, v60
	v_mul_f16_e32 v52, 0x3bf1, v47
	v_add_f16_e32 v49, v49, v54
	v_fmac_f16_e32 v48, 0xb9fd, v38
	v_mul_f16_e32 v53, 0x3bf1, v39
	v_fma_f16 v54, v46, 0xb9fd, -v60
	v_add_f16_e32 v50, v50, v56
	v_fma_f16 v56, v38, 0x2fb7, -v52
	v_mul_f16_e32 v47, 0x3770, v47
	v_fmac_f16_e32 v52, 0x2fb7, v38
	v_add_f16_e32 v26, v48, v26
	v_fmamk_f16 v48, v46, 0x2fb7, v53
	v_add_f16_e32 v44, v54, v44
	v_fma_f16 v53, v46, 0x2fb7, -v53
	v_fma_f16 v54, v38, 0x3b15, -v47
	v_add_f16_e32 v52, v52, v55
	v_sub_f16_e32 v55, v29, v32
	v_add_f16_e32 v34, v56, v34
	v_mul_f16_e32 v39, 0x3770, v39
	v_add_f16_e32 v45, v53, v45
	v_add_f16_e32 v53, v54, v57
	;; [unrolled: 1-line block ×3, first 2 shown]
	v_mul_f16_e32 v57, 0xbbf1, v55
	v_sub_f16_e32 v24, v24, v25
	v_fma_f16 v37, v38, 0xb5ac, -v61
	v_add_f16_e32 v35, v35, v62
	v_fmac_f16_e32 v61, 0xb5ac, v38
	v_fmac_f16_e32 v47, 0x3b15, v38
	v_fma_f16 v25, v46, 0x3b15, -v39
	v_add_f16_e32 v29, v32, v29
	v_fma_f16 v32, v56, 0x2fb7, -v57
	v_mul_f16_e32 v38, 0xbbf1, v24
	v_add_f16_e32 v37, v37, v63
	v_add_f16_e32 v22, v25, v22
	v_fmamk_f16 v54, v46, 0x3b15, v39
	v_add_f16_e32 v25, v32, v35
	v_fmamk_f16 v32, v29, 0x2fb7, v38
	v_mul_f16_e32 v35, 0xb3a8, v55
	v_fma_f16 v38, v29, 0x2fb7, -v38
	v_mul_f16_e32 v46, 0xb3a8, v24
	v_add_f16_e32 v21, v47, v21
	v_add_f16_e32 v27, v32, v27
	v_fma_f16 v32, v56, 0xbbc4, -v35
	v_add_f16_e32 v36, v38, v36
	v_fmamk_f16 v38, v29, 0xbbc4, v46
	v_mul_f16_e32 v47, 0x3b7b, v55
	v_add_f16_e32 v51, v61, v51
	v_add_f16_e32 v32, v32, v37
	v_fma_f16 v37, v29, 0xbbc4, -v46
	v_fmac_f16_e32 v35, 0xbbc4, v56
	v_add_f16_e32 v38, v38, v40
	v_fma_f16 v40, v56, 0xb5ac, -v47
	v_mul_f16_e32 v46, 0x3b7b, v24
	v_add_f16_e32 v37, v37, v42
	v_mul_f16_e32 v42, 0x3770, v55
	v_add_f16_e32 v39, v54, v59
	v_add_f16_e32 v35, v35, v51
	;; [unrolled: 1-line block ×3, first 2 shown]
	v_fmamk_f16 v40, v29, 0xb5ac, v46
	v_fmac_f16_e32 v47, 0xb5ac, v56
	v_fma_f16 v46, v29, 0xb5ac, -v46
	v_fma_f16 v51, v56, 0x3b15, -v42
	v_mul_f16_e32 v54, 0x3770, v24
	v_add_f16_e32 v40, v40, v49
	v_add_f16_e32 v33, v47, v33
	;; [unrolled: 1-line block ×4, first 2 shown]
	v_fmamk_f16 v46, v29, 0x3b15, v54
	v_mul_f16_e32 v47, 0xba95, v55
	v_fmac_f16_e32 v42, 0x3b15, v56
	v_mul_f16_e32 v49, 0xba95, v24
	v_fma_f16 v51, v29, 0x3b15, -v54
	v_add_f16_e32 v48, v48, v58
	v_add_f16_e32 v46, v46, v50
	v_fma_f16 v50, v56, 0x388b, -v47
	v_add_f16_e32 v26, v42, v26
	v_fmamk_f16 v42, v29, 0x388b, v49
	v_add_f16_e32 v44, v51, v44
	v_mul_f16_e32 v51, 0xb94e, v55
	v_add_f16_e32 v34, v50, v34
	v_fmac_f16_e32 v47, 0x388b, v56
	v_add_f16_e32 v42, v42, v48
	v_fma_f16 v48, v29, 0x388b, -v49
	v_fma_f16 v49, v56, 0xb9fd, -v51
	v_sub_f16_e32 v50, v30, v31
	v_mul_f16_e32 v24, 0xb94e, v24
	v_add_f16_e32 v47, v47, v52
	v_add_f16_e32 v45, v48, v45
	;; [unrolled: 1-line block ×4, first 2 shown]
	v_mul_f16_e32 v53, 0xbb7b, v50
	v_sub_f16_e32 v5, v5, v8
	v_fmamk_f16 v49, v29, 0xb9fd, v24
	v_fma_f16 v8, v29, 0xb9fd, -v24
	v_add_f16_e32 v24, v31, v30
	v_fma_f16 v29, v52, 0xb5ac, -v53
	v_mul_f16_e32 v30, 0xbb7b, v5
	v_add_f16_e32 v31, v49, v39
	v_add_f16_e32 v8, v8, v22
	v_mul_f16_e32 v39, 0x394e, v5
	v_add_f16_e32 v22, v29, v25
	v_fmamk_f16 v25, v24, 0xb5ac, v30
	v_mul_f16_e32 v29, 0x394e, v50
	v_fma_f16 v30, v24, 0xb5ac, -v30
	v_mul_f16_e32 v49, 0x3770, v50
	v_fmac_f16_e32 v51, 0xb9fd, v56
	v_add_f16_e32 v25, v25, v27
	v_fma_f16 v27, v52, 0xb9fd, -v29
	v_add_f16_e32 v30, v30, v36
	v_fmamk_f16 v36, v24, 0xb9fd, v39
	v_fmac_f16_e32 v29, 0xb9fd, v52
	v_add_f16_e32 v21, v51, v21
	v_add_f16_e32 v27, v27, v32
	v_fma_f16 v32, v24, 0xb9fd, -v39
	v_add_f16_e32 v36, v36, v38
	v_fma_f16 v38, v52, 0x3b15, -v49
	v_mul_f16_e32 v39, 0x3770, v5
	v_add_f16_e32 v29, v29, v35
	v_mul_f16_e32 v35, 0xbbf1, v50
	v_add_f16_e32 v32, v32, v37
	v_add_f16_e32 v28, v38, v28
	v_fmamk_f16 v37, v24, 0x3b15, v39
	v_fmac_f16_e32 v49, 0x3b15, v52
	v_fma_f16 v38, v24, 0x3b15, -v39
	v_fma_f16 v39, v52, 0x2fb7, -v35
	v_mul_f16_e32 v51, 0xbbf1, v5
	v_add_f16_e32 v37, v37, v40
	v_add_f16_e32 v33, v49, v33
	;; [unrolled: 1-line block ×4, first 2 shown]
	v_fmamk_f16 v40, v24, 0x2fb7, v51
	v_mul_f16_e32 v41, 0x33a8, v50
	v_fmac_f16_e32 v35, 0x2fb7, v52
	v_mul_f16_e32 v43, 0x33a8, v5
	v_fma_f16 v49, v24, 0x2fb7, -v51
	v_add_f16_e32 v40, v40, v46
	v_fma_f16 v46, v52, 0xbbc4, -v41
	v_add_f16_e32 v26, v35, v26
	v_fmamk_f16 v35, v24, 0xbbc4, v43
	v_add_f16_e32 v44, v49, v44
	v_mul_f16_e32 v49, 0x3a95, v50
	v_add_f16_e32 v34, v46, v34
	v_fmac_f16_e32 v41, 0xbbc4, v52
	v_add_f16_e32 v35, v35, v42
	v_fma_f16 v42, v24, 0xbbc4, -v43
	v_fma_f16 v43, v52, 0x388b, -v49
	v_sub_f16_e32 v46, v19, v20
	v_mul_f16_e32 v5, 0x3a95, v5
	v_add_f16_e32 v41, v41, v47
	v_add_f16_e32 v47, v7, v6
	v_add_f16_e32 v43, v43, v48
	v_mul_f16_e32 v48, 0xb94e, v46
	v_sub_f16_e32 v6, v6, v7
	v_add_f16_e32 v42, v42, v45
	v_fmamk_f16 v45, v24, 0x388b, v5
	v_fma_f16 v5, v24, 0x388b, -v5
	v_add_f16_e32 v7, v20, v19
	v_fma_f16 v19, v47, 0xb9fd, -v48
	v_mul_f16_e32 v20, 0xb94e, v6
	v_fmac_f16_e32 v57, 0x2fb7, v56
	v_add_f16_e32 v24, v45, v31
	v_add_f16_e32 v5, v5, v8
	;; [unrolled: 1-line block ×3, first 2 shown]
	v_fmamk_f16 v19, v7, 0xb9fd, v20
	v_mul_f16_e32 v22, 0x3bf1, v46
	v_fma_f16 v20, v7, 0xb9fd, -v20
	v_mul_f16_e32 v31, 0x3bf1, v6
	v_add_f16_e32 v23, v57, v23
	v_fmac_f16_e32 v53, 0xb5ac, v52
	v_add_f16_e32 v19, v19, v25
	v_fma_f16 v25, v47, 0x2fb7, -v22
	v_add_f16_e32 v20, v20, v30
	v_fmamk_f16 v30, v7, 0x2fb7, v31
	v_mul_f16_e32 v45, 0xba95, v46
	v_fmac_f16_e32 v22, 0x2fb7, v47
	v_add_f16_e32 v23, v53, v23
	v_fmac_f16_e32 v48, 0xb9fd, v47
	v_add_f16_e32 v25, v25, v27
	v_fma_f16 v27, v7, 0x2fb7, -v31
	v_add_f16_e32 v30, v30, v36
	v_fma_f16 v31, v47, 0x388b, -v45
	v_mul_f16_e32 v36, 0xba95, v6
	v_add_f16_e32 v22, v22, v29
	v_mul_f16_e32 v29, 0x33a8, v46
	v_add_f16_e32 v23, v48, v23
	v_add_f16_e32 v27, v27, v32
	;; [unrolled: 1-line block ×3, first 2 shown]
	v_fmamk_f16 v31, v7, 0x388b, v36
	v_fmac_f16_e32 v45, 0x388b, v47
	v_fma_f16 v32, v7, 0x388b, -v36
	v_fma_f16 v36, v47, 0xbbc4, -v29
	v_mul_f16_e32 v48, 0x33a8, v6
	v_add_f16_e32 v31, v31, v37
	v_add_f16_e32 v33, v45, v33
	;; [unrolled: 1-line block ×4, first 2 shown]
	v_fmamk_f16 v37, v7, 0xbbc4, v48
	v_mul_f16_e32 v38, 0x3770, v46
	v_fmac_f16_e32 v29, 0xbbc4, v47
	v_mul_f16_e32 v39, 0x3770, v6
	v_fma_f16 v45, v7, 0xbbc4, -v48
	v_add_f16_e32 v37, v37, v40
	v_fma_f16 v40, v47, 0x3b15, -v38
	v_add_f16_e32 v26, v29, v26
	v_fmamk_f16 v29, v7, 0x3b15, v39
	v_add_f16_e32 v44, v45, v44
	v_mul_f16_e32 v45, 0xbb7b, v46
	v_add_f16_e32 v34, v40, v34
	v_sub_f16_e32 v40, v16, v17
	v_add_f16_e32 v29, v29, v35
	v_fma_f16 v35, v7, 0x3b15, -v39
	v_fma_f16 v39, v47, 0xb5ac, -v45
	v_fmac_f16_e32 v38, 0x3b15, v47
	v_mul_f16_e32 v6, 0xbb7b, v6
	v_fmac_f16_e32 v49, 0x388b, v52
	v_add_f16_e32 v35, v35, v42
	v_add_f16_e32 v39, v39, v43
	;; [unrolled: 1-line block ×3, first 2 shown]
	v_mul_f16_e32 v43, 0xb3a8, v40
	v_sub_f16_e32 v3, v3, v4
	v_add_f16_e32 v38, v38, v41
	v_fmamk_f16 v41, v7, 0xb5ac, v6
	v_fma_f16 v4, v7, 0xb5ac, -v6
	v_add_f16_e32 v6, v17, v16
	v_fma_f16 v7, v42, 0xbbc4, -v43
	v_mul_f16_e32 v16, 0xb3a8, v3
	v_add_f16_e32 v17, v41, v24
	v_add_f16_e32 v4, v4, v5
	v_mul_f16_e32 v24, 0x3770, v3
	v_add_f16_e32 v5, v7, v8
	v_fmamk_f16 v7, v6, 0xbbc4, v16
	v_mul_f16_e32 v8, 0x3770, v40
	v_fma_f16 v16, v6, 0xbbc4, -v16
	v_mul_f16_e32 v41, 0xb94e, v40
	v_fmac_f16_e32 v43, 0xbbc4, v42
	v_add_f16_e32 v7, v7, v19
	v_fma_f16 v19, v42, 0x3b15, -v8
	v_add_f16_e32 v16, v16, v20
	v_fmamk_f16 v20, v6, 0x3b15, v24
	v_fmac_f16_e32 v8, 0x3b15, v42
	v_fma_f16 v24, v6, 0x3b15, -v24
	v_add_f16_e32 v19, v19, v25
	v_fma_f16 v25, v42, 0xb9fd, -v41
	v_add_f16_e32 v20, v20, v30
	v_mul_f16_e32 v30, 0xb94e, v3
	v_add_f16_e32 v23, v43, v23
	v_add_f16_e32 v8, v8, v22
	;; [unrolled: 1-line block ×4, first 2 shown]
	v_fmamk_f16 v27, v6, 0xb9fd, v30
	v_fmac_f16_e32 v41, 0xb9fd, v42
	v_fma_f16 v28, v6, 0xb9fd, -v30
	v_mul_f16_e32 v43, 0x3a95, v3
	v_mul_f16_e32 v24, 0x3a95, v40
	v_add_f16_e32 v27, v27, v31
	v_add_f16_e32 v31, v41, v33
	;; [unrolled: 1-line block ×3, first 2 shown]
	v_fmamk_f16 v32, v6, 0x388b, v43
	v_mul_f16_e32 v33, 0xbb7b, v40
	v_mul_f16_e32 v41, 0xbb7b, v3
	;; [unrolled: 1-line block ×3, first 2 shown]
	v_fma_f16 v30, v42, 0x388b, -v24
	v_add_f16_e32 v32, v32, v37
	v_fma_f16 v37, v42, 0xb5ac, -v33
	v_fmac_f16_e32 v24, 0x388b, v42
	v_add_f16_e32 v21, v49, v21
	v_add_f16_e32 v30, v30, v36
	v_fma_f16 v36, v6, 0x388b, -v43
	v_add_f16_e32 v34, v37, v34
	v_mul_f16_e32 v37, 0x3bf1, v40
	v_fmamk_f16 v40, v6, 0x2fb7, v3
	v_fma_f16 v3, v6, 0x2fb7, -v3
	v_fmac_f16_e32 v45, 0xb5ac, v47
	v_add_f16_e32 v24, v24, v26
	v_add_f16_e32 v26, v36, v44
	v_fmamk_f16 v36, v6, 0xb5ac, v41
	v_add_f16_e32 v3, v3, v4
	v_mul_lo_u16 v4, v13, 20
	v_fmac_f16_e32 v33, 0xb5ac, v42
	v_add_f16_e32 v21, v45, v21
	v_add_f16_e32 v29, v36, v29
	v_fma_f16 v36, v6, 0xb5ac, -v41
	v_lshrrev_b16 v4, 8, v4
	v_add_f16_e32 v33, v33, v38
	v_fma_f16 v38, v42, 0x2fb7, -v37
	v_fmac_f16_e32 v37, 0x2fb7, v42
	v_add_f16_e32 v6, v36, v35
	v_mul_lo_u16 v4, v4, 13
	v_mad_u32_u24 v36, 0x240, v13, v9
	v_pack_b32_f16 v5, v5, v7
	v_add_f16_e32 v21, v37, v21
	v_pack_b32_f16 v7, v19, v20
	v_sub_nc_u16 v4, v13, v4
	v_pack_b32_f16 v19, v25, v27
	v_add_f16_e32 v35, v38, v39
	v_add_f16_e32 v17, v40, v17
	ds_store_2addr_b32 v36, v18, v5 offset1:12
	ds_store_2addr_b32 v36, v7, v19 offset0:24 offset1:36
	v_pack_b32_f16 v7, v21, v3
	v_and_b32_e32 v3, 0xff, v4
	v_pack_b32_f16 v20, v30, v32
	v_pack_b32_f16 v25, v34, v29
	;; [unrolled: 1-line block ×4, first 2 shown]
	v_mul_u32_u24_e32 v17, 12, v3
	v_pack_b32_f16 v4, v24, v26
	v_pack_b32_f16 v13, v31, v28
	;; [unrolled: 1-line block ×4, first 2 shown]
	ds_store_2addr_b32 v36, v20, v25 offset0:48 offset1:60
	ds_store_2addr_b32 v36, v5, v7 offset0:72 offset1:84
	;; [unrolled: 1-line block ×4, first 2 shown]
	ds_store_b32 v36, v16 offset:576
	v_lshlrev_b32_e32 v8, 2, v17
	global_wb scope:SCOPE_SE
	s_wait_dscnt 0x0
	s_barrier_signal -1
	s_barrier_wait -1
	global_inv scope:SCOPE_SE
	s_clause 0x2
	global_load_b128 v[4:7], v8, s[24:25]
	global_load_b128 v[16:19], v8, s[24:25] offset:16
	global_load_b128 v[20:23], v8, s[24:25] offset:32
	ds_load_2addr_b32 v[24:25], v11 offset0:48 offset1:204
	ds_load_2addr_b32 v[11:12], v12 offset0:40 offset1:196
	ds_load_2addr_b32 v[13:14], v14 offset0:96 offset1:252
	ds_load_2addr_b32 v[26:27], v15 offset0:24 offset1:180
	ds_load_b32 v15, v9 offset:7488
	ds_load_2addr_b32 v[28:29], v9 offset1:156
	ds_load_2addr_b32 v[30:31], v10 offset0:56 offset1:212
	ds_load_u16 v8, v9 offset:2498
	v_and_b32_e32 v0, 0xffff, v0
	s_mul_i32 s2, s6, 13
	s_delay_alu instid0(VALU_DEP_1)
	v_add_nc_u32_e32 v0, v3, v0
	s_wait_dscnt 0x7
	v_lshrrev_b32_e32 v32, 16, v25
	s_wait_dscnt 0x6
	v_lshrrev_b32_e32 v33, 16, v11
	v_lshrrev_b32_e32 v34, 16, v12
	s_wait_dscnt 0x5
	v_lshrrev_b32_e32 v35, 16, v13
	;; [unrolled: 3-line block ×3, first 2 shown]
	s_wait_dscnt 0x1
	v_lshrrev_b32_e32 v41, 16, v30
	v_lshrrev_b32_e32 v46, 16, v31
	;; [unrolled: 1-line block ×5, first 2 shown]
	s_wait_loadcnt 0x2
	v_lshrrev_b32_e32 v9, 16, v4
	v_lshrrev_b32_e32 v40, 16, v5
	;; [unrolled: 1-line block ×4, first 2 shown]
	s_delay_alu instid0(VALU_DEP_4) | instskip(SKIP_3) | instid1(VALU_DEP_4)
	v_mul_f16_e32 v44, v9, v10
	v_mul_f16_e32 v45, v9, v29
	;; [unrolled: 1-line block ×4, first 2 shown]
	v_fma_f16 v29, v4, v29, -v44
	s_delay_alu instid0(VALU_DEP_4) | instskip(NEXT) | instid1(VALU_DEP_4)
	v_fmac_f16_e32 v45, v4, v10
	v_fma_f16 v30, v5, v30, -v9
	v_mul_f16_e32 v4, v42, v46
	s_wait_loadcnt 0x1
	v_lshrrev_b32_e32 v9, 16, v16
	v_fmac_f16_e32 v40, v5, v41
	v_mul_f16_e32 v41, v42, v31
	s_wait_dscnt 0x0
	v_mul_f16_e32 v5, v8, v43
	v_fma_f16 v31, v6, v31, -v4
	v_mul_f16_e32 v4, v32, v9
	v_mul_f16_e32 v42, v43, v24
	;; [unrolled: 1-line block ×3, first 2 shown]
	v_fma_f16 v24, v7, v24, -v5
	v_lshrrev_b32_e32 v5, 16, v17
	v_fma_f16 v10, v25, v16, -v4
	v_lshrrev_b32_e32 v25, 16, v28
	v_fmac_f16_e32 v42, v8, v7
	v_lshrrev_b32_e32 v8, 16, v18
	v_fmac_f16_e32 v9, v32, v16
	v_mul_f16_e32 v4, v33, v5
	v_add_f16_e32 v16, v45, v25
	v_add_f16_e32 v32, v29, v28
	v_fmac_f16_e32 v41, v6, v46
	v_lshrrev_b32_e32 v43, 16, v19
	v_mul_f16_e32 v7, v34, v8
	v_fma_f16 v6, v11, v17, -v4
	v_add_f16_e32 v4, v16, v40
	v_add_f16_e32 v16, v32, v30
	v_mul_f16_e32 v8, v12, v8
	v_fma_f16 v7, v12, v18, -v7
	v_mul_f16_e32 v12, v35, v43
	v_add_f16_e32 v4, v4, v41
	v_add_f16_e32 v16, v16, v31
	v_mul_f16_e32 v5, v11, v5
	v_mul_f16_e32 v11, v13, v43
	v_fma_f16 v12, v13, v19, -v12
	v_add_f16_e32 v4, v4, v42
	v_add_f16_e32 v13, v16, v24
	v_fmac_f16_e32 v5, v33, v17
	v_fmac_f16_e32 v8, v34, v18
	s_wait_loadcnt 0x0
	v_lshrrev_b32_e32 v16, 16, v20
	v_add_f16_e32 v4, v4, v9
	v_add_f16_e32 v13, v13, v10
	v_lshrrev_b32_e32 v17, 16, v21
	v_fmac_f16_e32 v11, v35, v19
	v_lshrrev_b32_e32 v18, 16, v22
	v_add_f16_e32 v4, v4, v5
	v_add_f16_e32 v13, v13, v6
	v_mul_f16_e32 v32, v36, v16
	v_mul_f16_e32 v16, v14, v16
	;; [unrolled: 1-line block ×3, first 2 shown]
	v_add_f16_e32 v4, v4, v8
	v_add_f16_e32 v13, v13, v7
	v_lshrrev_b32_e32 v19, 16, v23
	v_fma_f16 v14, v14, v20, -v32
	v_fmac_f16_e32 v16, v36, v20
	v_fma_f16 v20, v26, v21, -v33
	v_mul_f16_e32 v17, v26, v17
	v_mul_f16_e32 v26, v38, v18
	v_add_f16_e32 v4, v4, v11
	v_add_f16_e32 v13, v13, v12
	v_mul_f16_e32 v18, v27, v18
	v_fmac_f16_e32 v17, v37, v21
	v_fma_f16 v21, v27, v22, -v26
	v_add_f16_e32 v4, v4, v16
	v_add_f16_e32 v13, v13, v14
	v_fmac_f16_e32 v18, v38, v22
	v_mul_f16_e32 v22, v15, v19
	v_mul_f16_e32 v19, v39, v19
	v_add_f16_e32 v4, v4, v17
	v_add_f16_e32 v13, v13, v20
	v_sub_f16_e32 v52, v40, v18
	v_fmac_f16_e32 v22, v39, v23
	v_fma_f16 v15, v15, v23, -v19
	v_add_f16_e32 v4, v4, v18
	v_add_f16_e32 v13, v13, v21
	;; [unrolled: 1-line block ×3, first 2 shown]
	v_sub_f16_e32 v19, v45, v22
	v_add_f16_e32 v23, v29, v15
	v_add_f16_e32 v4, v4, v22
	;; [unrolled: 1-line block ×3, first 2 shown]
	v_sub_f16_e32 v15, v29, v15
	v_mul_f16_e32 v26, 0xb770, v19
	v_add_f16_e32 v22, v45, v22
	v_lshlrev_b32_e32 v4, 16, v4
	v_and_b32_e32 v13, 0xffff, v13
	v_mul_f16_e32 v29, 0xb770, v15
	v_fma_f16 v27, v23, 0x3b15, -v26
	v_mul_f16_e32 v32, 0xba95, v19
	v_mul_f16_e32 v33, 0xba95, v15
	;; [unrolled: 1-line block ×11, first 2 shown]
	v_sub_f16_e32 v21, v30, v21
	v_or_b32_e32 v4, v4, v13
	v_add_f16_e32 v13, v27, v28
	v_fmamk_f16 v27, v22, 0x3b15, v29
	v_fmac_f16_e32 v26, 0x3b15, v23
	v_fma_f16 v29, v22, 0x3b15, -v29
	v_fma_f16 v34, v23, 0x388b, -v32
	v_fmamk_f16 v35, v22, 0x388b, v33
	v_fmac_f16_e32 v32, 0x388b, v23
	v_fma_f16 v33, v22, 0x388b, -v33
	v_fma_f16 v37, v23, 0x2fb7, -v36
	;; [unrolled: 4-line block ×5, first 2 shown]
	v_fmamk_f16 v53, v22, 0xbbc4, v15
	v_fmac_f16_e32 v19, 0xbbc4, v23
	v_fma_f16 v15, v22, 0xbbc4, -v15
	v_add_f16_e32 v18, v40, v18
	v_fma_f16 v22, v54, 0x388b, -v55
	v_mul_f16_e32 v23, 0xba95, v21
	v_add_f16_e32 v27, v27, v25
	v_add_f16_e32 v26, v26, v28
	;; [unrolled: 1-line block ×24, first 2 shown]
	v_fmamk_f16 v22, v18, 0x388b, v23
	v_mul_f16_e32 v25, 0xbb7b, v52
	v_fma_f16 v23, v18, 0x388b, -v23
	v_mul_f16_e32 v28, 0xbb7b, v21
	v_mul_f16_e32 v40, 0xb3a8, v52
	v_add_f16_e32 v22, v22, v27
	v_fma_f16 v27, v54, 0xb5ac, -v25
	v_add_f16_e32 v23, v23, v29
	v_fmamk_f16 v29, v18, 0xb5ac, v28
	v_fmac_f16_e32 v25, 0xb5ac, v54
	v_fma_f16 v28, v18, 0xb5ac, -v28
	v_add_f16_e32 v27, v27, v34
	v_fma_f16 v34, v54, 0xbbc4, -v40
	v_add_f16_e32 v29, v29, v35
	v_mul_f16_e32 v35, 0xb3a8, v21
	v_add_f16_e32 v25, v25, v32
	v_mul_f16_e32 v32, 0x394e, v52
	v_add_f16_e32 v28, v28, v33
	v_add_f16_e32 v33, v34, v37
	v_fmamk_f16 v34, v18, 0xbbc4, v35
	v_fmac_f16_e32 v40, 0xbbc4, v54
	v_fma_f16 v35, v18, 0xbbc4, -v35
	v_fma_f16 v37, v54, 0xb9fd, -v32
	v_mul_f16_e32 v53, 0x394e, v21
	v_add_f16_e32 v34, v34, v43
	v_add_f16_e32 v36, v40, v36
	;; [unrolled: 1-line block ×4, first 2 shown]
	v_fmamk_f16 v38, v18, 0xb9fd, v53
	v_mul_f16_e32 v40, 0x3bf1, v52
	v_fma_f16 v44, v18, 0xb9fd, -v53
	v_fmac_f16_e32 v32, 0xb9fd, v54
	v_mul_f16_e32 v43, 0x3bf1, v21
	v_add_f16_e32 v38, v38, v46
	v_fma_f16 v46, v54, 0x2fb7, -v40
	v_add_f16_e32 v44, v44, v45
	v_mul_f16_e32 v45, 0x3770, v52
	v_fmac_f16_e32 v40, 0x2fb7, v54
	v_add_f16_e32 v32, v32, v39
	v_fmamk_f16 v39, v18, 0x2fb7, v43
	v_add_f16_e32 v46, v46, v49
	v_fma_f16 v43, v18, 0x2fb7, -v43
	v_fma_f16 v49, v54, 0x3b15, -v45
	v_add_f16_e32 v40, v40, v47
	v_sub_f16_e32 v47, v41, v17
	v_add_f16_e32 v39, v39, v50
	v_mul_f16_e32 v21, 0x3770, v21
	v_add_f16_e32 v43, v43, v48
	v_add_f16_e32 v48, v49, v51
	;; [unrolled: 1-line block ×3, first 2 shown]
	v_mul_f16_e32 v51, 0xbbf1, v47
	v_sub_f16_e32 v20, v31, v20
	v_fmamk_f16 v49, v18, 0x3b15, v21
	v_fma_f16 v18, v18, 0x3b15, -v21
	v_add_f16_e32 v17, v41, v17
	v_fma_f16 v21, v50, 0x2fb7, -v51
	v_mul_f16_e32 v31, 0xbbf1, v20
	v_fmac_f16_e32 v45, 0x3b15, v54
	v_add_f16_e32 v15, v18, v15
	v_mul_f16_e32 v41, 0xb3a8, v20
	v_add_f16_e32 v13, v21, v13
	v_fmamk_f16 v18, v17, 0x2fb7, v31
	v_mul_f16_e32 v21, 0xb3a8, v47
	v_fma_f16 v31, v17, 0x2fb7, -v31
	v_add_f16_e32 v19, v45, v19
	v_mul_f16_e32 v45, 0x3b7b, v47
	v_add_f16_e32 v18, v18, v22
	v_fma_f16 v22, v50, 0xbbc4, -v21
	v_add_f16_e32 v23, v31, v23
	v_fmamk_f16 v31, v17, 0xbbc4, v41
	v_fmac_f16_e32 v21, 0xbbc4, v50
	v_add_f16_e32 v30, v49, v30
	v_add_f16_e32 v22, v22, v27
	v_fma_f16 v27, v17, 0xbbc4, -v41
	v_add_f16_e32 v29, v31, v29
	v_fma_f16 v31, v50, 0xb5ac, -v45
	v_mul_f16_e32 v41, 0x3b7b, v20
	v_add_f16_e32 v21, v21, v25
	v_add_f16_e32 v25, v27, v28
	v_mul_f16_e32 v27, 0x3770, v47
	v_add_f16_e32 v28, v31, v33
	v_fmamk_f16 v31, v17, 0xb5ac, v41
	v_fmac_f16_e32 v45, 0xb5ac, v50
	v_fma_f16 v33, v17, 0xb5ac, -v41
	v_fma_f16 v41, v50, 0x3b15, -v27
	v_mul_f16_e32 v49, 0x3770, v20
	v_add_f16_e32 v31, v31, v34
	v_add_f16_e32 v34, v45, v36
	;; [unrolled: 1-line block ×4, first 2 shown]
	v_fmamk_f16 v36, v17, 0x3b15, v49
	v_mul_f16_e32 v37, 0xba95, v47
	v_fmac_f16_e32 v27, 0x3b15, v50
	v_mul_f16_e32 v41, 0xba95, v20
	v_fma_f16 v45, v17, 0x3b15, -v49
	v_add_f16_e32 v36, v36, v38
	v_fma_f16 v38, v50, 0x388b, -v37
	v_fmac_f16_e32 v37, 0x388b, v50
	v_add_f16_e32 v27, v27, v32
	v_fmamk_f16 v32, v17, 0x388b, v41
	v_add_f16_e32 v44, v45, v44
	v_mul_f16_e32 v45, 0xb94e, v47
	v_add_f16_e32 v37, v37, v40
	v_sub_f16_e32 v40, v42, v16
	v_add_f16_e32 v38, v38, v46
	v_add_f16_e32 v32, v32, v39
	v_fma_f16 v39, v17, 0x388b, -v41
	v_mul_f16_e32 v20, 0xb94e, v20
	v_add_f16_e32 v46, v24, v14
	v_mul_f16_e32 v47, 0xbb7b, v40
	v_sub_f16_e32 v14, v24, v14
	v_add_f16_e32 v39, v39, v43
	v_fmamk_f16 v43, v17, 0xb9fd, v20
	v_fma_f16 v17, v17, 0xb9fd, -v20
	v_add_f16_e32 v16, v42, v16
	v_fma_f16 v20, v46, 0xb5ac, -v47
	v_mul_f16_e32 v24, 0xbb7b, v14
	v_mul_f16_e32 v42, 0x394e, v14
	v_add_f16_e32 v15, v17, v15
	v_add_f16_e32 v30, v43, v30
	;; [unrolled: 1-line block ×3, first 2 shown]
	v_fmamk_f16 v17, v16, 0xb5ac, v24
	v_mul_f16_e32 v20, 0x394e, v40
	v_fma_f16 v24, v16, 0xb5ac, -v24
	v_mul_f16_e32 v43, 0x3770, v40
	v_fma_f16 v41, v50, 0xb9fd, -v45
	v_add_f16_e32 v17, v17, v18
	v_fma_f16 v18, v46, 0xb9fd, -v20
	v_add_f16_e32 v23, v24, v23
	v_fmamk_f16 v24, v16, 0xb9fd, v42
	v_fmac_f16_e32 v20, 0xb9fd, v46
	v_fmac_f16_e32 v45, 0xb9fd, v50
	v_add_f16_e32 v18, v18, v22
	v_fma_f16 v22, v16, 0xb9fd, -v42
	v_add_f16_e32 v24, v24, v29
	v_fma_f16 v29, v46, 0x3b15, -v43
	v_mul_f16_e32 v42, 0x3770, v14
	v_add_f16_e32 v20, v20, v21
	v_add_f16_e32 v21, v22, v25
	v_mul_f16_e32 v22, 0xbbf1, v40
	v_add_f16_e32 v19, v45, v19
	v_add_f16_e32 v25, v29, v28
	v_fmamk_f16 v28, v16, 0x3b15, v42
	v_fmac_f16_e32 v43, 0x3b15, v46
	v_fma_f16 v29, v16, 0x3b15, -v42
	v_fma_f16 v42, v46, 0x2fb7, -v22
	v_mul_f16_e32 v45, 0xbbf1, v14
	v_add_f16_e32 v28, v28, v31
	v_add_f16_e32 v31, v43, v34
	;; [unrolled: 1-line block ×4, first 2 shown]
	v_fmamk_f16 v34, v16, 0x2fb7, v45
	v_mul_f16_e32 v35, 0x33a8, v40
	v_fmac_f16_e32 v22, 0x2fb7, v46
	v_mul_f16_e32 v42, 0x33a8, v14
	v_mul_f16_e32 v40, 0x3a95, v40
	v_add_f16_e32 v34, v34, v36
	v_fma_f16 v36, v46, 0xbbc4, -v35
	v_fmac_f16_e32 v35, 0xbbc4, v46
	v_add_f16_e32 v41, v41, v48
	v_add_f16_e32 v22, v22, v27
	v_fmamk_f16 v27, v16, 0xbbc4, v42
	v_add_f16_e32 v36, v36, v38
	v_fma_f16 v38, v46, 0x388b, -v40
	v_add_f16_e32 v35, v35, v37
	v_sub_f16_e32 v37, v9, v11
	v_add_f16_e32 v27, v27, v32
	v_fma_f16 v32, v16, 0xbbc4, -v42
	v_mul_f16_e32 v14, 0x3a95, v14
	v_add_f16_e32 v38, v38, v41
	v_add_f16_e32 v41, v10, v12
	v_mul_f16_e32 v42, 0xb94e, v37
	v_sub_f16_e32 v10, v10, v12
	v_add_f16_e32 v32, v32, v39
	v_fmamk_f16 v39, v16, 0x388b, v14
	v_fma_f16 v12, v16, 0x388b, -v14
	v_add_f16_e32 v9, v9, v11
	v_fma_f16 v11, v41, 0xb9fd, -v42
	v_mul_f16_e32 v14, 0xb94e, v10
	v_fma_f16 v43, v16, 0x2fb7, -v45
	v_add_f16_e32 v16, v39, v30
	v_add_f16_e32 v12, v12, v15
	;; [unrolled: 1-line block ×3, first 2 shown]
	v_fmamk_f16 v13, v9, 0xb9fd, v14
	v_mul_f16_e32 v15, 0x3bf1, v37
	v_fma_f16 v14, v9, 0xb9fd, -v14
	v_mul_f16_e32 v30, 0x3bf1, v10
	v_mul_f16_e32 v39, 0xba95, v37
	v_add_f16_e32 v13, v13, v17
	v_fma_f16 v17, v41, 0x2fb7, -v15
	v_add_f16_e32 v14, v14, v23
	v_fmamk_f16 v23, v9, 0x2fb7, v30
	v_fmac_f16_e32 v15, 0x2fb7, v41
	v_fmac_f16_e32 v40, 0x388b, v46
	v_add_f16_e32 v17, v17, v18
	v_fma_f16 v18, v9, 0x2fb7, -v30
	v_add_f16_e32 v23, v23, v24
	v_fma_f16 v24, v41, 0x388b, -v39
	v_mul_f16_e32 v30, 0xba95, v10
	v_add_f16_e32 v15, v15, v20
	v_mul_f16_e32 v20, 0x33a8, v37
	v_add_f16_e32 v19, v40, v19
	v_add_f16_e32 v18, v18, v21
	;; [unrolled: 1-line block ×3, first 2 shown]
	v_fmamk_f16 v24, v9, 0x388b, v30
	v_fmac_f16_e32 v39, 0x388b, v41
	v_fma_f16 v25, v9, 0x388b, -v30
	v_fma_f16 v30, v41, 0xbbc4, -v20
	v_mul_f16_e32 v40, 0x33a8, v10
	v_add_f16_e32 v43, v43, v44
	v_add_f16_e32 v24, v24, v28
	;; [unrolled: 1-line block ×5, first 2 shown]
	v_fmac_f16_e32 v20, 0xbbc4, v41
	v_fma_f16 v33, v9, 0xbbc4, -v40
	v_mul_f16_e32 v39, 0x3770, v10
	v_fmamk_f16 v30, v9, 0xbbc4, v40
	v_mul_f16_e32 v31, 0x3770, v37
	v_add_f16_e32 v20, v20, v22
	v_add_f16_e32 v22, v33, v43
	v_fmamk_f16 v33, v9, 0x3b15, v39
	v_mul_f16_e32 v37, 0xbb7b, v37
	v_fmac_f16_e32 v55, 0x388b, v54
	v_add_f16_e32 v30, v30, v34
	v_fma_f16 v34, v41, 0x3b15, -v31
	v_fmac_f16_e32 v31, 0x3b15, v41
	v_add_f16_e32 v27, v33, v27
	v_fma_f16 v33, v41, 0xb5ac, -v37
	v_add_f16_e32 v26, v55, v26
	v_fmac_f16_e32 v51, 0x2fb7, v50
	v_add_f16_e32 v34, v34, v36
	v_fma_f16 v36, v9, 0x3b15, -v39
	v_mul_f16_e32 v10, 0xbb7b, v10
	v_add_f16_e32 v31, v31, v35
	v_sub_f16_e32 v35, v5, v8
	v_add_f16_e32 v33, v33, v38
	v_add_f16_e32 v38, v6, v7
	v_sub_f16_e32 v6, v6, v7
	v_add_f16_e32 v26, v51, v26
	v_fmac_f16_e32 v47, 0xb5ac, v46
	v_add_f16_e32 v32, v36, v32
	v_fmamk_f16 v36, v9, 0xb5ac, v10
	v_mul_f16_e32 v7, 0xb3a8, v35
	v_fma_f16 v9, v9, 0xb5ac, -v10
	v_add_f16_e32 v8, v5, v8
	v_mul_f16_e32 v5, 0xb3a8, v6
	v_add_f16_e32 v26, v47, v26
	v_fmac_f16_e32 v42, 0xb9fd, v41
	v_fma_f16 v10, v38, 0xbbc4, -v7
	v_add_f16_e32 v9, v9, v12
	v_fmamk_f16 v12, v8, 0xbbc4, v5
	v_fmac_f16_e32 v37, 0xb5ac, v41
	v_add_f16_e32 v26, v42, v26
	v_add_f16_e32 v11, v10, v11
	v_mul_f16_e32 v10, 0x3770, v35
	v_fmac_f16_e32 v7, 0xbbc4, v38
	v_fma_f16 v5, v8, 0xbbc4, -v5
	v_add_f16_e32 v12, v12, v13
	v_mul_f16_e32 v13, 0x3770, v6
	v_add_f16_e32 v16, v36, v16
	v_add_f16_e32 v19, v37, v19
	v_fma_f16 v36, v38, 0x3b15, -v10
	v_add_f16_e32 v26, v7, v26
	v_add_f16_e32 v37, v5, v14
	v_mul_f16_e32 v5, 0xb94e, v35
	v_fmamk_f16 v7, v8, 0x3b15, v13
	v_add_f16_e32 v14, v36, v17
	v_fmac_f16_e32 v10, 0x3b15, v38
	v_fma_f16 v13, v8, 0x3b15, -v13
	v_fma_f16 v17, v38, 0xb9fd, -v5
	v_add_f16_e32 v23, v7, v23
	v_mul_f16_e32 v7, 0xb94e, v6
	v_add_f16_e32 v15, v10, v15
	v_add_f16_e32 v18, v13, v18
	v_add_f16_e32 v13, v17, v21
	v_mul_f16_e32 v10, 0x3a95, v35
	v_fmamk_f16 v17, v8, 0xb9fd, v7
	v_fmac_f16_e32 v5, 0xb9fd, v38
	v_mul_f16_e32 v21, 0x3a95, v6
	v_fma_f16 v7, v8, 0xb9fd, -v7
	v_fma_f16 v36, v38, 0x388b, -v10
	v_add_f16_e32 v17, v17, v24
	v_add_f16_e32 v24, v5, v28
	v_fmamk_f16 v5, v8, 0x388b, v21
	v_fmac_f16_e32 v10, 0x388b, v38
	v_add_f16_e32 v28, v36, v29
	v_mul_f16_e32 v29, 0xbb7b, v6
	v_add_f16_e32 v25, v7, v25
	v_add_f16_e32 v30, v5, v30
	v_fma_f16 v5, v8, 0x388b, -v21
	v_add_f16_e32 v20, v10, v20
	v_fmamk_f16 v10, v8, 0xb5ac, v29
	v_mul_f16_e32 v7, 0xbb7b, v35
	v_mul_lo_u32 v39, v1, s5
	v_add_f16_e32 v22, v5, v22
	v_add_co_ci_u32_e64 v5, null, 0, 0, s7
	v_add_f16_e32 v27, v10, v27
	v_mul_f16_e32 v10, 0x3bf1, v6
	v_fma_f16 v21, v38, 0xb5ac, -v7
	s_delay_alu instid0(VALU_DEP_4)
	v_mul_lo_u32 v36, v5, s4
	v_mad_co_u64_u32 v[5:6], null, v1, s4, 0
	v_fmac_f16_e32 v7, 0xb5ac, v38
	v_mul_lo_u32 v1, v0, s6
	v_add_f16_e32 v21, v21, v34
	v_fma_f16 v29, v8, 0xb5ac, -v29
	v_fma_f16 v3, v8, 0x2fb7, -v10
	v_add_f16_e32 v31, v7, v31
	v_mul_f16_e32 v7, 0x3bf1, v35
	v_add3_u32 v6, v6, v39, v36
	v_fmamk_f16 v35, v8, 0x2fb7, v10
	v_add_f16_e32 v29, v29, v32
	v_add_f16_e32 v0, v3, v9
	v_fma_f16 v34, v38, 0x2fb7, -v7
	v_fmac_f16_e32 v7, 0x2fb7, v38
	v_lshlrev_b64_e32 v[5:6], 2, v[5:6]
	v_pack_b32_f16 v3, v11, v12
	v_pack_b32_f16 v23, v14, v23
	v_add_f16_e32 v32, v34, v33
	v_add_f16_e32 v19, v7, v19
	v_lshlrev_b64_e32 v[7:8], 2, v[1:2]
	s_wait_alu 0xfffe
	v_add_nc_u32_e32 v1, s2, v1
	v_add_co_u32 v33, vcc_lo, s0, v5
	s_wait_alu 0xfffd
	v_add_co_ci_u32_e32 v34, vcc_lo, s1, v6, vcc_lo
	s_delay_alu instid0(VALU_DEP_3) | instskip(SKIP_4) | instid1(VALU_DEP_3)
	v_lshlrev_b64_e32 v[5:6], 2, v[1:2]
	v_add_nc_u32_e32 v1, s2, v1
	v_add_co_u32 v7, vcc_lo, v33, v7
	s_wait_alu 0xfffd
	v_add_co_ci_u32_e32 v8, vcc_lo, v34, v8, vcc_lo
	v_lshlrev_b64_e32 v[9:10], 2, v[1:2]
	v_add_nc_u32_e32 v1, s2, v1
	v_add_co_u32 v5, vcc_lo, v33, v5
	s_wait_alu 0xfffd
	v_add_co_ci_u32_e32 v6, vcc_lo, v34, v6, vcc_lo
	s_delay_alu instid0(VALU_DEP_3)
	v_lshlrev_b64_e32 v[11:12], 2, v[1:2]
	v_add_nc_u32_e32 v1, s2, v1
	v_add_co_u32 v9, vcc_lo, v33, v9
	s_wait_alu 0xfffd
	v_add_co_ci_u32_e32 v10, vcc_lo, v34, v10, vcc_lo
	v_pack_b32_f16 v17, v13, v17
	v_lshlrev_b64_e32 v[13:14], 2, v[1:2]
	v_add_nc_u32_e32 v1, s2, v1
	v_add_co_u32 v11, vcc_lo, v33, v11
	s_wait_alu 0xfffd
	v_add_co_ci_u32_e32 v12, vcc_lo, v34, v12, vcc_lo
	s_clause 0x3
	global_store_b32 v[7:8], v4, off
	global_store_b32 v[5:6], v3, off
	;; [unrolled: 1-line block ×4, first 2 shown]
	v_lshlrev_b64_e32 v[3:4], 2, v[1:2]
	v_add_nc_u32_e32 v1, s2, v1
	v_add_co_u32 v5, vcc_lo, v33, v13
	s_wait_alu 0xfffd
	v_add_co_ci_u32_e32 v6, vcc_lo, v34, v14, vcc_lo
	s_delay_alu instid0(VALU_DEP_3)
	v_lshlrev_b64_e32 v[7:8], 2, v[1:2]
	v_add_nc_u32_e32 v1, s2, v1
	v_add_co_u32 v3, vcc_lo, v33, v3
	v_add_f16_e32 v16, v35, v16
	s_wait_alu 0xfffd
	v_add_co_ci_u32_e32 v4, vcc_lo, v34, v4, vcc_lo
	v_lshlrev_b64_e32 v[9:10], 2, v[1:2]
	v_add_nc_u32_e32 v1, s2, v1
	v_add_co_u32 v7, vcc_lo, v33, v7
	v_pack_b32_f16 v13, v28, v30
	s_wait_alu 0xfffd
	v_add_co_ci_u32_e32 v8, vcc_lo, v34, v8, vcc_lo
	v_lshlrev_b64_e32 v[11:12], 2, v[1:2]
	v_add_nc_u32_e32 v1, s2, v1
	v_pack_b32_f16 v14, v21, v27
	v_add_co_u32 v9, vcc_lo, v33, v9
	v_pack_b32_f16 v16, v32, v16
	s_wait_alu 0xfffd
	v_add_co_ci_u32_e32 v10, vcc_lo, v34, v10, vcc_lo
	v_pack_b32_f16 v0, v19, v0
	s_clause 0x3
	global_store_b32 v[5:6], v13, off
	global_store_b32 v[3:4], v14, off
	;; [unrolled: 1-line block ×4, first 2 shown]
	v_lshlrev_b64_e32 v[3:4], 2, v[1:2]
	v_add_nc_u32_e32 v1, s2, v1
	v_add_co_u32 v5, vcc_lo, v33, v11
	s_wait_alu 0xfffd
	v_add_co_ci_u32_e32 v6, vcc_lo, v34, v12, vcc_lo
	s_delay_alu instid0(VALU_DEP_3) | instskip(SKIP_4) | instid1(VALU_DEP_3)
	v_lshlrev_b64_e32 v[7:8], 2, v[1:2]
	v_add_nc_u32_e32 v1, s2, v1
	v_add_co_u32 v3, vcc_lo, v33, v3
	s_wait_alu 0xfffd
	v_add_co_ci_u32_e32 v4, vcc_lo, v34, v4, vcc_lo
	v_lshlrev_b64_e32 v[9:10], 2, v[1:2]
	v_add_nc_u32_e32 v1, s2, v1
	v_add_co_u32 v7, vcc_lo, v33, v7
	s_wait_alu 0xfffd
	v_add_co_ci_u32_e32 v8, vcc_lo, v34, v8, vcc_lo
	s_delay_alu instid0(VALU_DEP_3)
	v_lshlrev_b64_e32 v[0:1], 2, v[1:2]
	v_add_co_u32 v9, vcc_lo, v33, v9
	v_pack_b32_f16 v11, v31, v29
	v_pack_b32_f16 v12, v20, v22
	s_wait_alu 0xfffd
	v_add_co_ci_u32_e32 v10, vcc_lo, v34, v10, vcc_lo
	v_pack_b32_f16 v13, v24, v25
	v_add_co_u32 v0, vcc_lo, v33, v0
	v_pack_b32_f16 v2, v15, v18
	s_wait_alu 0xfffd
	v_add_co_ci_u32_e32 v1, vcc_lo, v34, v1, vcc_lo
	v_pack_b32_f16 v14, v26, v37
	s_clause 0x4
	global_store_b32 v[5:6], v11, off
	global_store_b32 v[3:4], v12, off
	;; [unrolled: 1-line block ×5, first 2 shown]
	s_nop 0
	s_sendmsg sendmsg(MSG_DEALLOC_VGPRS)
	s_endpgm
	.section	.rodata,"a",@progbits
	.p2align	6, 0x0
	.amdhsa_kernel fft_rtc_fwd_len169_factors_13_13_wgs_156_tpt_13_half_op_CI_CI_sbrc_xy_z_aligned_dirReg
		.amdhsa_group_segment_fixed_size 0
		.amdhsa_private_segment_fixed_size 0
		.amdhsa_kernarg_size 104
		.amdhsa_user_sgpr_count 2
		.amdhsa_user_sgpr_dispatch_ptr 0
		.amdhsa_user_sgpr_queue_ptr 0
		.amdhsa_user_sgpr_kernarg_segment_ptr 1
		.amdhsa_user_sgpr_dispatch_id 0
		.amdhsa_user_sgpr_private_segment_size 0
		.amdhsa_wavefront_size32 1
		.amdhsa_uses_dynamic_stack 0
		.amdhsa_enable_private_segment 0
		.amdhsa_system_sgpr_workgroup_id_x 1
		.amdhsa_system_sgpr_workgroup_id_y 0
		.amdhsa_system_sgpr_workgroup_id_z 0
		.amdhsa_system_sgpr_workgroup_info 0
		.amdhsa_system_vgpr_workitem_id 0
		.amdhsa_next_free_vgpr 68
		.amdhsa_next_free_sgpr 32
		.amdhsa_reserve_vcc 1
		.amdhsa_float_round_mode_32 0
		.amdhsa_float_round_mode_16_64 0
		.amdhsa_float_denorm_mode_32 3
		.amdhsa_float_denorm_mode_16_64 3
		.amdhsa_fp16_overflow 0
		.amdhsa_workgroup_processor_mode 1
		.amdhsa_memory_ordered 1
		.amdhsa_forward_progress 0
		.amdhsa_round_robin_scheduling 0
		.amdhsa_exception_fp_ieee_invalid_op 0
		.amdhsa_exception_fp_denorm_src 0
		.amdhsa_exception_fp_ieee_div_zero 0
		.amdhsa_exception_fp_ieee_overflow 0
		.amdhsa_exception_fp_ieee_underflow 0
		.amdhsa_exception_fp_ieee_inexact 0
		.amdhsa_exception_int_div_zero 0
	.end_amdhsa_kernel
	.text
.Lfunc_end0:
	.size	fft_rtc_fwd_len169_factors_13_13_wgs_156_tpt_13_half_op_CI_CI_sbrc_xy_z_aligned_dirReg, .Lfunc_end0-fft_rtc_fwd_len169_factors_13_13_wgs_156_tpt_13_half_op_CI_CI_sbrc_xy_z_aligned_dirReg
                                        ; -- End function
	.section	.AMDGPU.csdata,"",@progbits
; Kernel info:
; codeLenInByte = 10444
; NumSgprs: 34
; NumVgprs: 68
; ScratchSize: 0
; MemoryBound: 0
; FloatMode: 240
; IeeeMode: 1
; LDSByteSize: 0 bytes/workgroup (compile time only)
; SGPRBlocks: 4
; VGPRBlocks: 8
; NumSGPRsForWavesPerEU: 34
; NumVGPRsForWavesPerEU: 68
; Occupancy: 15
; WaveLimiterHint : 1
; COMPUTE_PGM_RSRC2:SCRATCH_EN: 0
; COMPUTE_PGM_RSRC2:USER_SGPR: 2
; COMPUTE_PGM_RSRC2:TRAP_HANDLER: 0
; COMPUTE_PGM_RSRC2:TGID_X_EN: 1
; COMPUTE_PGM_RSRC2:TGID_Y_EN: 0
; COMPUTE_PGM_RSRC2:TGID_Z_EN: 0
; COMPUTE_PGM_RSRC2:TIDIG_COMP_CNT: 0
	.text
	.p2alignl 7, 3214868480
	.fill 96, 4, 3214868480
	.type	__hip_cuid_e616dd3f42f84118,@object ; @__hip_cuid_e616dd3f42f84118
	.section	.bss,"aw",@nobits
	.globl	__hip_cuid_e616dd3f42f84118
__hip_cuid_e616dd3f42f84118:
	.byte	0                               ; 0x0
	.size	__hip_cuid_e616dd3f42f84118, 1

	.ident	"AMD clang version 19.0.0git (https://github.com/RadeonOpenCompute/llvm-project roc-6.4.0 25133 c7fe45cf4b819c5991fe208aaa96edf142730f1d)"
	.section	".note.GNU-stack","",@progbits
	.addrsig
	.addrsig_sym __hip_cuid_e616dd3f42f84118
	.amdgpu_metadata
---
amdhsa.kernels:
  - .args:
      - .actual_access:  read_only
        .address_space:  global
        .offset:         0
        .size:           8
        .value_kind:     global_buffer
      - .offset:         8
        .size:           8
        .value_kind:     by_value
      - .actual_access:  read_only
        .address_space:  global
        .offset:         16
        .size:           8
        .value_kind:     global_buffer
      - .actual_access:  read_only
        .address_space:  global
        .offset:         24
        .size:           8
        .value_kind:     global_buffer
      - .actual_access:  read_only
        .address_space:  global
        .offset:         32
        .size:           8
        .value_kind:     global_buffer
      - .offset:         40
        .size:           8
        .value_kind:     by_value
      - .actual_access:  read_only
        .address_space:  global
        .offset:         48
        .size:           8
        .value_kind:     global_buffer
      - .actual_access:  read_only
        .address_space:  global
        .offset:         56
        .size:           8
        .value_kind:     global_buffer
      - .offset:         64
        .size:           4
        .value_kind:     by_value
      - .actual_access:  read_only
        .address_space:  global
        .offset:         72
        .size:           8
        .value_kind:     global_buffer
      - .actual_access:  read_only
        .address_space:  global
        .offset:         80
        .size:           8
        .value_kind:     global_buffer
      - .actual_access:  read_only
        .address_space:  global
        .offset:         88
        .size:           8
        .value_kind:     global_buffer
      - .actual_access:  write_only
        .address_space:  global
        .offset:         96
        .size:           8
        .value_kind:     global_buffer
    .group_segment_fixed_size: 0
    .kernarg_segment_align: 8
    .kernarg_segment_size: 104
    .language:       OpenCL C
    .language_version:
      - 2
      - 0
    .max_flat_workgroup_size: 156
    .name:           fft_rtc_fwd_len169_factors_13_13_wgs_156_tpt_13_half_op_CI_CI_sbrc_xy_z_aligned_dirReg
    .private_segment_fixed_size: 0
    .sgpr_count:     34
    .sgpr_spill_count: 0
    .symbol:         fft_rtc_fwd_len169_factors_13_13_wgs_156_tpt_13_half_op_CI_CI_sbrc_xy_z_aligned_dirReg.kd
    .uniform_work_group_size: 1
    .uses_dynamic_stack: false
    .vgpr_count:     68
    .vgpr_spill_count: 0
    .wavefront_size: 32
    .workgroup_processor_mode: 1
amdhsa.target:   amdgcn-amd-amdhsa--gfx1201
amdhsa.version:
  - 1
  - 2
...

	.end_amdgpu_metadata
